;; amdgpu-corpus repo=ROCm/rocFFT kind=compiled arch=gfx950 opt=O3
	.text
	.amdgcn_target "amdgcn-amd-amdhsa--gfx950"
	.amdhsa_code_object_version 6
	.protected	fft_rtc_back_len384_factors_6_4_4_4_wgs_128_tpt_32_halfLds_sp_op_CI_CI_unitstride_sbrr_R2C_dirReg ; -- Begin function fft_rtc_back_len384_factors_6_4_4_4_wgs_128_tpt_32_halfLds_sp_op_CI_CI_unitstride_sbrr_R2C_dirReg
	.globl	fft_rtc_back_len384_factors_6_4_4_4_wgs_128_tpt_32_halfLds_sp_op_CI_CI_unitstride_sbrr_R2C_dirReg
	.p2align	8
	.type	fft_rtc_back_len384_factors_6_4_4_4_wgs_128_tpt_32_halfLds_sp_op_CI_CI_unitstride_sbrr_R2C_dirReg,@function
fft_rtc_back_len384_factors_6_4_4_4_wgs_128_tpt_32_halfLds_sp_op_CI_CI_unitstride_sbrr_R2C_dirReg: ; @fft_rtc_back_len384_factors_6_4_4_4_wgs_128_tpt_32_halfLds_sp_op_CI_CI_unitstride_sbrr_R2C_dirReg
; %bb.0:
	s_load_dwordx4 s[4:7], s[0:1], 0x58
	s_load_dwordx4 s[8:11], s[0:1], 0x0
	;; [unrolled: 1-line block ×3, first 2 shown]
	v_lshrrev_b32_e32 v1, 5, v0
	v_lshl_or_b32 v8, s2, 2, v1
	v_mov_b32_e32 v6, 0
	s_waitcnt lgkmcnt(0)
	v_cmp_lt_u64_e64 s[2:3], s[10:11], 2
	v_mov_b32_e32 v9, v6
	s_and_b64 vcc, exec, s[2:3]
	v_mov_b64_e32 v[14:15], 0
	s_cbranch_vccnz .LBB0_8
; %bb.1:
	s_load_dwordx2 s[2:3], s[0:1], 0x10
	s_add_u32 s16, s14, 8
	s_addc_u32 s17, s15, 0
	s_add_u32 s18, s12, 8
	s_addc_u32 s19, s13, 0
	s_waitcnt lgkmcnt(0)
	s_add_u32 s20, s2, 8
	v_mov_b64_e32 v[14:15], 0
	s_addc_u32 s21, s3, 0
	s_mov_b64 s[22:23], 1
	v_mov_b64_e32 v[2:3], v[14:15]
.LBB0_2:                                ; =>This Inner Loop Header: Depth=1
	s_load_dwordx2 s[24:25], s[20:21], 0x0
                                        ; implicit-def: $vgpr4_vgpr5
	s_waitcnt lgkmcnt(0)
	v_or_b32_e32 v7, s25, v9
	v_cmp_ne_u64_e32 vcc, 0, v[6:7]
	s_and_saveexec_b64 s[2:3], vcc
	s_xor_b64 s[26:27], exec, s[2:3]
	s_cbranch_execz .LBB0_4
; %bb.3:                                ;   in Loop: Header=BB0_2 Depth=1
	v_cvt_f32_u32_e32 v4, s24
	v_cvt_f32_u32_e32 v5, s25
	s_sub_u32 s2, 0, s24
	s_subb_u32 s3, 0, s25
	v_fmac_f32_e32 v4, 0x4f800000, v5
	v_rcp_f32_e32 v4, v4
	s_nop 0
	v_mul_f32_e32 v4, 0x5f7ffffc, v4
	v_mul_f32_e32 v5, 0x2f800000, v4
	v_trunc_f32_e32 v5, v5
	v_fmac_f32_e32 v4, 0xcf800000, v5
	v_cvt_u32_f32_e32 v7, v5
	v_cvt_u32_f32_e32 v12, v4
	v_mul_lo_u32 v4, s2, v7
	v_mul_hi_u32 v10, s2, v12
	v_mul_lo_u32 v5, s3, v12
	v_add_u32_e32 v10, v10, v4
	v_mul_lo_u32 v13, s2, v12
	v_add_u32_e32 v16, v10, v5
	v_mul_hi_u32 v4, v12, v13
	v_mul_hi_u32 v11, v12, v16
	v_mul_lo_u32 v10, v12, v16
	v_mov_b32_e32 v5, v6
	v_lshl_add_u64 v[4:5], v[4:5], 0, v[10:11]
	v_mul_hi_u32 v11, v7, v13
	v_mul_lo_u32 v13, v7, v13
	v_add_co_u32_e32 v4, vcc, v4, v13
	v_mul_hi_u32 v10, v7, v16
	s_nop 0
	v_addc_co_u32_e32 v4, vcc, v5, v11, vcc
	v_mov_b32_e32 v5, v6
	s_nop 0
	v_addc_co_u32_e32 v11, vcc, 0, v10, vcc
	v_mul_lo_u32 v10, v7, v16
	v_lshl_add_u64 v[4:5], v[4:5], 0, v[10:11]
	v_add_co_u32_e32 v12, vcc, v12, v4
	v_mul_lo_u32 v10, s2, v12
	s_nop 0
	v_addc_co_u32_e32 v7, vcc, v7, v5, vcc
	v_mul_lo_u32 v4, s2, v7
	v_mul_hi_u32 v5, s2, v12
	v_add_u32_e32 v4, v5, v4
	v_mul_lo_u32 v5, s3, v12
	v_add_u32_e32 v13, v4, v5
	v_mul_hi_u32 v17, v7, v10
	v_mul_lo_u32 v18, v7, v10
	v_mul_hi_u32 v5, v12, v13
	v_mul_lo_u32 v4, v12, v13
	v_mul_hi_u32 v10, v12, v10
	v_mov_b32_e32 v11, v6
	v_lshl_add_u64 v[4:5], v[10:11], 0, v[4:5]
	v_add_co_u32_e32 v4, vcc, v4, v18
	v_mul_hi_u32 v16, v7, v13
	s_nop 0
	v_addc_co_u32_e32 v4, vcc, v5, v17, vcc
	v_mul_lo_u32 v10, v7, v13
	s_nop 0
	v_addc_co_u32_e32 v11, vcc, 0, v16, vcc
	v_mov_b32_e32 v5, v6
	v_lshl_add_u64 v[4:5], v[4:5], 0, v[10:11]
	v_add_co_u32_e32 v12, vcc, v12, v4
	v_mul_hi_u32 v10, v8, v12
	s_nop 0
	v_addc_co_u32_e32 v7, vcc, v7, v5, vcc
	v_mad_u64_u32 v[4:5], s[2:3], v8, v7, 0
	v_mov_b32_e32 v11, v6
	v_lshl_add_u64 v[4:5], v[10:11], 0, v[4:5]
	v_mad_u64_u32 v[12:13], s[2:3], v9, v12, 0
	v_add_co_u32_e32 v4, vcc, v4, v12
	v_mad_u64_u32 v[10:11], s[2:3], v9, v7, 0
	s_nop 0
	v_addc_co_u32_e32 v4, vcc, v5, v13, vcc
	v_mov_b32_e32 v5, v6
	s_nop 0
	v_addc_co_u32_e32 v11, vcc, 0, v11, vcc
	v_lshl_add_u64 v[4:5], v[4:5], 0, v[10:11]
	v_mul_lo_u32 v7, s25, v4
	v_mul_lo_u32 v12, s24, v5
	v_mad_u64_u32 v[10:11], s[2:3], s24, v4, 0
	v_add3_u32 v7, v11, v12, v7
	v_sub_u32_e32 v11, v9, v7
	v_mov_b32_e32 v12, s25
	v_sub_co_u32_e32 v16, vcc, v8, v10
	s_nop 1
	v_subb_co_u32_e64 v10, s[2:3], v11, v12, vcc
	v_subrev_co_u32_e64 v11, s[2:3], s24, v16
	v_subb_co_u32_e32 v7, vcc, v9, v7, vcc
	s_nop 0
	v_subbrev_co_u32_e64 v10, s[2:3], 0, v10, s[2:3]
	v_cmp_le_u32_e64 s[2:3], s25, v10
	v_cmp_le_u32_e32 vcc, s25, v7
	s_nop 0
	v_cndmask_b32_e64 v12, 0, -1, s[2:3]
	v_cmp_le_u32_e64 s[2:3], s24, v11
	s_nop 1
	v_cndmask_b32_e64 v11, 0, -1, s[2:3]
	v_cmp_eq_u32_e64 s[2:3], s25, v10
	s_nop 1
	v_cndmask_b32_e64 v17, v12, v11, s[2:3]
	v_lshl_add_u64 v[10:11], v[4:5], 0, 2
	v_lshl_add_u64 v[12:13], v[4:5], 0, 1
	v_cmp_ne_u32_e64 s[2:3], 0, v17
	s_nop 1
	v_cndmask_b32_e64 v11, v13, v11, s[2:3]
	v_cndmask_b32_e64 v13, 0, -1, vcc
	v_cmp_le_u32_e32 vcc, s24, v16
	s_nop 1
	v_cndmask_b32_e64 v16, 0, -1, vcc
	v_cmp_eq_u32_e32 vcc, s25, v7
	s_nop 1
	v_cndmask_b32_e32 v7, v13, v16, vcc
	v_cmp_ne_u32_e32 vcc, 0, v7
	v_cndmask_b32_e64 v7, v12, v10, s[2:3]
	s_nop 0
	v_cndmask_b32_e32 v5, v5, v11, vcc
	v_cndmask_b32_e32 v4, v4, v7, vcc
.LBB0_4:                                ;   in Loop: Header=BB0_2 Depth=1
	s_andn2_saveexec_b64 s[2:3], s[26:27]
	s_cbranch_execz .LBB0_6
; %bb.5:                                ;   in Loop: Header=BB0_2 Depth=1
	v_cvt_f32_u32_e32 v4, s24
	s_sub_i32 s26, 0, s24
	v_rcp_iflag_f32_e32 v4, v4
	s_nop 0
	v_mul_f32_e32 v4, 0x4f7ffffe, v4
	v_cvt_u32_f32_e32 v4, v4
	v_mul_lo_u32 v5, s26, v4
	v_mul_hi_u32 v5, v4, v5
	v_add_u32_e32 v4, v4, v5
	v_mul_hi_u32 v4, v8, v4
	v_mul_lo_u32 v5, v4, s24
	v_sub_u32_e32 v5, v8, v5
	v_add_u32_e32 v7, 1, v4
	v_subrev_u32_e32 v10, s24, v5
	v_cmp_le_u32_e32 vcc, s24, v5
	s_nop 1
	v_cndmask_b32_e32 v5, v5, v10, vcc
	v_cndmask_b32_e32 v4, v4, v7, vcc
	v_add_u32_e32 v7, 1, v4
	v_cmp_le_u32_e32 vcc, s24, v5
	v_mov_b32_e32 v5, v6
	s_nop 0
	v_cndmask_b32_e32 v4, v4, v7, vcc
.LBB0_6:                                ;   in Loop: Header=BB0_2 Depth=1
	s_or_b64 exec, exec, s[2:3]
	v_mad_u64_u32 v[10:11], s[2:3], v4, s24, 0
	s_load_dwordx2 s[2:3], s[18:19], 0x0
	v_mul_lo_u32 v7, v5, s24
	v_mul_lo_u32 v12, v4, s25
	s_load_dwordx2 s[24:25], s[16:17], 0x0
	s_add_u32 s22, s22, 1
	v_add3_u32 v7, v11, v12, v7
	v_sub_co_u32_e32 v8, vcc, v8, v10
	s_addc_u32 s23, s23, 0
	s_nop 0
	v_subb_co_u32_e32 v7, vcc, v9, v7, vcc
	s_add_u32 s16, s16, 8
	s_waitcnt lgkmcnt(0)
	v_mul_lo_u32 v9, s2, v7
	v_mul_lo_u32 v10, s3, v8
	v_mad_u64_u32 v[14:15], s[2:3], s2, v8, v[14:15]
	s_addc_u32 s17, s17, 0
	v_add3_u32 v15, v10, v15, v9
	v_mul_lo_u32 v7, s24, v7
	v_mul_lo_u32 v9, s25, v8
	v_mad_u64_u32 v[2:3], s[2:3], s24, v8, v[2:3]
	s_add_u32 s18, s18, 8
	v_add3_u32 v3, v9, v3, v7
	s_addc_u32 s19, s19, 0
	v_mov_b64_e32 v[8:9], s[10:11]
	s_add_u32 s20, s20, 8
	v_cmp_ge_u64_e32 vcc, s[22:23], v[8:9]
	s_addc_u32 s21, s21, 0
	s_cbranch_vccnz .LBB0_9
; %bb.7:                                ;   in Loop: Header=BB0_2 Depth=1
	v_mov_b64_e32 v[8:9], v[4:5]
	s_branch .LBB0_2
.LBB0_8:
	v_mov_b64_e32 v[2:3], v[14:15]
	v_mov_b64_e32 v[4:5], v[8:9]
.LBB0_9:
	s_load_dwordx2 s[0:1], s[0:1], 0x28
	s_lshl_b64 s[10:11], s[10:11], 3
	s_add_u32 s2, s14, s10
	s_addc_u32 s3, s15, s11
	v_and_b32_e32 v6, 31, v0
	s_waitcnt lgkmcnt(0)
	v_cmp_gt_u64_e32 vcc, s[0:1], v[4:5]
	v_cmp_le_u64_e64 s[0:1], s[0:1], v[4:5]
                                        ; implicit-def: $vgpr10
                                        ; implicit-def: $vgpr8
                                        ; implicit-def: $vgpr12
	s_and_saveexec_b64 s[14:15], s[0:1]
	s_xor_b64 s[0:1], exec, s[14:15]
; %bb.10:
	v_and_b32_e32 v10, 31, v0
	v_or_b32_e32 v8, 32, v10
	v_or_b32_e32 v12, 64, v10
                                        ; implicit-def: $vgpr14_vgpr15
                                        ; implicit-def: $vgpr6
; %bb.11:
	s_or_saveexec_b64 s[0:1], s[0:1]
	v_mul_u32_u24_e32 v0, 0x181, v1
	v_lshlrev_b32_e32 v0, 3, v0
	s_xor_b64 exec, exec, s[0:1]
	s_cbranch_execz .LBB0_13
; %bb.12:
	s_add_u32 s10, s12, s10
	s_addc_u32 s11, s13, s11
	s_load_dwordx2 s[10:11], s[10:11], 0x0
	v_lshlrev_b32_e32 v10, 3, v6
	v_mov_b32_e32 v11, 0
	v_or_b32_e32 v12, 64, v6
	s_waitcnt lgkmcnt(0)
	v_mul_lo_u32 v1, s11, v4
	v_mul_lo_u32 v7, s10, v5
	v_mad_u64_u32 v[8:9], s[10:11], s10, v4, 0
	v_add3_u32 v9, v9, v7, v1
	v_lshl_add_u64 v[8:9], v[8:9], 3, s[4:5]
	v_lshl_add_u64 v[8:9], v[14:15], 3, v[8:9]
	v_lshl_add_u64 v[8:9], v[8:9], 0, v[10:11]
	global_load_dwordx2 v[14:15], v[8:9], off
	global_load_dwordx2 v[16:17], v[8:9], off offset:256
	global_load_dwordx2 v[18:19], v[8:9], off offset:512
	;; [unrolled: 1-line block ×11, first 2 shown]
	v_or_b32_e32 v8, 32, v6
	v_add3_u32 v1, 0, v0, v10
	v_mov_b32_e32 v10, v6
	v_add_u32_e32 v7, 0x800, v1
	s_waitcnt vmcnt(10)
	ds_write2_b64 v1, v[14:15], v[16:17] offset1:32
	s_waitcnt vmcnt(8)
	ds_write2_b64 v1, v[18:19], v[20:21] offset0:64 offset1:96
	s_waitcnt vmcnt(6)
	ds_write2_b64 v1, v[22:23], v[24:25] offset0:128 offset1:160
	;; [unrolled: 2-line block ×3, first 2 shown]
	s_waitcnt vmcnt(2)
	ds_write2_b64 v7, v[30:31], v[32:33] offset1:32
	s_waitcnt vmcnt(0)
	ds_write2_b64 v7, v[34:35], v[36:37] offset0:64 offset1:96
.LBB0_13:
	s_or_b64 exec, exec, s[0:1]
	v_lshlrev_b32_e32 v9, 3, v10
	v_add_u32_e32 v7, 0, v0
	v_add3_u32 v11, 0, v9, v0
	v_add_u32_e32 v20, v7, v9
	v_mul_i32_i24_e32 v0, 6, v8
	v_add_u32_e32 v14, 0x800, v11
	s_load_dwordx2 s[2:3], s[2:3], 0x0
	s_waitcnt lgkmcnt(0)
	s_barrier
	v_lshl_add_u32 v21, v0, 3, v7
	ds_read2_b64 v[16:19], v11 offset0:32 offset1:64
	ds_read2_b64 v[22:25], v11 offset0:160 offset1:192
	v_add_u32_e32 v13, 0x400, v11
	ds_read2_b64 v[26:29], v14 offset0:32 offset1:64
	ds_read2_b64 v[30:33], v13 offset0:96 offset1:128
	ds_read_b64 v[0:1], v11 offset:2816
	ds_read2_b64 v[34:37], v11 offset0:96 offset1:128
	ds_read_b64 v[40:41], v20
	s_mov_b32 s4, 0x3f5db3d7
	s_waitcnt lgkmcnt(4)
	v_pk_add_f32 v[50:51], v[24:25], v[28:29]
	v_pk_add_f32 v[52:53], v[24:25], v[28:29] neg_lo:[0,1] neg_hi:[0,1]
	v_fma_f32 v50, -0.5, v50, v18
	s_waitcnt lgkmcnt(0)
	v_pk_add_f32 v[48:49], v[40:41], v[36:37]
	v_pk_add_f32 v[54:55], v[36:37], v[32:33]
	;; [unrolled: 1-line block ×3, first 2 shown]
	v_pk_add_f32 v[32:33], v[36:37], v[32:33] neg_lo:[0,1] neg_hi:[0,1]
	v_pk_add_f32 v[24:25], v[18:19], v[24:25]
	v_fma_f32 v18, -0.5, v51, v19
	s_mov_b32 s10, 0.5
	v_pk_add_f32 v[24:25], v[24:25], v[28:29]
	v_fmamk_f32 v28, v52, 0x3f5db3d7, v18
	v_pk_mul_f32 v[32:33], v[32:33], s[4:5] op_sel_hi:[1,0]
	s_mov_b32 s5, s10
	v_fmamk_f32 v36, v53, 0xbf5db3d7, v50
	v_pk_fma_f32 v[40:41], v[54:55], 0.5, v[40:41] op_sel_hi:[1,0,1] neg_lo:[1,0,0] neg_hi:[1,0,0]
	s_mov_b32 s11, s4
	v_pk_mul_f32 v[28:29], v[28:29], s[4:5] op_sel_hi:[0,1]
	v_fmac_f32_e32 v18, 0xbf5db3d7, v52
	v_pk_add_f32 v[54:55], v[40:41], v[32:33] op_sel:[0,1] op_sel_hi:[1,0] neg_lo:[0,1] neg_hi:[0,1]
	v_pk_add_f32 v[32:33], v[40:41], v[32:33] op_sel:[0,1] op_sel_hi:[1,0]
	v_pk_fma_f32 v[40:41], v[36:37], s[10:11], v[28:29] neg_lo:[0,0,1] neg_hi:[0,0,1]
	v_pk_fma_f32 v[28:29], v[36:37], s[10:11], v[28:29] op_sel_hi:[0,1,1]
	s_mov_b32 s0, -0.5
	v_fmac_f32_e32 v50, 0x3f5db3d7, v53
	v_mov_b32_e32 v36, v54
	v_mov_b32_e32 v37, v33
	;; [unrolled: 1-line block ×3, first 2 shown]
	s_mov_b32 s1, s4
	v_pk_mul_f32 v[18:19], v[18:19], s[4:5] op_sel_hi:[0,1]
	v_mad_u32_u24 v15, v10, 40, v11
	v_pk_add_f32 v[52:53], v[48:49], v[24:25]
	v_pk_add_f32 v[28:29], v[36:37], v[40:41]
	v_pk_fma_f32 v[18:19], v[50:51], s[0:1], v[18:19] op_sel_hi:[0,1,1] neg_lo:[0,0,1] neg_hi:[0,0,1]
	v_mov_b32_e32 v33, v55
	s_barrier
	ds_write2_b64 v15, v[52:53], v[28:29] offset1:1
	v_pk_add_f32 v[28:29], v[32:33], v[18:19]
	v_pk_add_f32 v[24:25], v[48:49], v[24:25] neg_lo:[0,1] neg_hi:[0,1]
	v_pk_add_f32 v[42:43], v[30:31], v[0:1]
	v_pk_add_f32 v[44:45], v[30:31], v[0:1] neg_lo:[0,1] neg_hi:[0,1]
	v_pk_add_f32 v[30:31], v[34:35], v[30:31]
	ds_write2_b64 v15, v[28:29], v[24:25] offset0:2 offset1:3
	v_pk_add_f32 v[24:25], v[36:37], v[40:41] neg_lo:[0,1] neg_hi:[0,1]
	v_pk_add_f32 v[18:19], v[32:33], v[18:19] neg_lo:[0,1] neg_hi:[0,1]
	v_pk_add_f32 v[0:1], v[30:31], v[0:1]
	v_fma_f32 v30, -0.5, v43, v35
	ds_write2_b64 v15, v[24:25], v[18:19] offset0:4 offset1:5
	v_pk_add_f32 v[18:19], v[22:23], v[26:27]
	v_pk_add_f32 v[38:39], v[16:17], v[22:23]
	v_fma_f32 v42, -0.5, v42, v34
	v_fmamk_f32 v34, v44, 0x3f5db3d7, v30
	v_pk_fma_f32 v[16:17], v[18:19], 0.5, v[16:17] op_sel_hi:[1,0,1] neg_lo:[1,0,0] neg_hi:[1,0,0]
	v_pk_add_f32 v[18:19], v[22:23], v[26:27] neg_lo:[0,1] neg_hi:[0,1]
	v_fmamk_f32 v46, v45, 0xbf5db3d7, v42
	v_pk_mul_f32 v[18:19], v[18:19], s[4:5] op_sel_hi:[1,0]
	v_pk_mul_f32 v[24:25], v[34:35], s[4:5] op_sel_hi:[0,1]
	v_pk_add_f32 v[38:39], v[38:39], v[26:27]
	v_pk_add_f32 v[22:23], v[16:17], v[18:19] op_sel:[0,1] op_sel_hi:[1,0] neg_lo:[0,1] neg_hi:[0,1]
	v_pk_add_f32 v[16:17], v[16:17], v[18:19] op_sel:[0,1] op_sel_hi:[1,0]
	v_pk_fma_f32 v[26:27], v[46:47], s[10:11], v[24:25] neg_lo:[0,0,1] neg_hi:[0,0,1]
	v_pk_fma_f32 v[24:25], v[46:47], s[10:11], v[24:25] op_sel_hi:[0,1,1]
	v_mov_b32_e32 v18, v22
	v_mov_b32_e32 v19, v17
	;; [unrolled: 1-line block ×3, first 2 shown]
	v_fmac_f32_e32 v42, 0x3f5db3d7, v45
	v_fmac_f32_e32 v30, 0xbf5db3d7, v44
	v_pk_add_f32 v[44:45], v[38:39], v[0:1]
	v_pk_add_f32 v[24:25], v[18:19], v[26:27]
	ds_write2_b64 v21, v[44:45], v[24:25] offset1:1
	v_pk_mul_f32 v[24:25], v[30:31], s[4:5] op_sel_hi:[0,1]
	v_pk_fma_f32 v[24:25], v[42:43], s[0:1], v[24:25] op_sel_hi:[0,1,1] neg_lo:[0,0,1] neg_hi:[0,0,1]
	v_mov_b32_e32 v17, v23
	s_movk_i32 s0, 0xab
	v_pk_add_f32 v[22:23], v[16:17], v[24:25]
	v_pk_add_f32 v[0:1], v[38:39], v[0:1] neg_lo:[0,1] neg_hi:[0,1]
	v_mul_lo_u16_sdwa v54, v12, s0 dst_sel:DWORD dst_unused:UNUSED_PAD src0_sel:BYTE_0 src1_sel:DWORD
	ds_write2_b64 v21, v[22:23], v[0:1] offset0:2 offset1:3
	v_pk_add_f32 v[0:1], v[18:19], v[26:27] neg_lo:[0,1] neg_hi:[0,1]
	v_pk_add_f32 v[16:17], v[16:17], v[24:25] neg_lo:[0,1] neg_hi:[0,1]
	v_lshrrev_b16_e32 v34, 10, v54
	ds_write2_b64 v21, v[0:1], v[16:17] offset0:4 offset1:5
	v_mul_lo_u16_e32 v0, 6, v34
	v_mov_b32_e32 v15, 3
	v_sub_u16_e32 v35, v12, v0
	v_mul_u32_u24_sdwa v0, v35, v15 dst_sel:DWORD dst_unused:UNUSED_PAD src0_sel:BYTE_0 src1_sel:DWORD
	v_lshlrev_b32_e32 v22, 3, v0
	s_waitcnt lgkmcnt(0)
	s_barrier
	global_load_dwordx4 v[16:19], v22, s[8:9]
	global_load_dwordx2 v[0:1], v22, s[8:9] offset:16
	v_mul_lo_u16_sdwa v55, v8, s0 dst_sel:DWORD dst_unused:UNUSED_PAD src0_sel:BYTE_0 src1_sel:DWORD
	v_lshrrev_b16_e32 v36, 10, v55
	v_mul_lo_u16_e32 v22, 6, v36
	v_sub_u16_e32 v37, v8, v22
	v_mul_u32_u24_sdwa v22, v37, v15 dst_sel:DWORD dst_unused:UNUSED_PAD src0_sel:BYTE_0 src1_sel:DWORD
	v_lshlrev_b32_e32 v26, 3, v22
	global_load_dwordx4 v[22:25], v26, s[8:9]
	global_load_dwordx2 v[38:39], v26, s[8:9] offset:16
	v_mul_lo_u16_sdwa v26, v10, s0 dst_sel:DWORD dst_unused:UNUSED_PAD src0_sel:BYTE_0 src1_sel:DWORD
	v_lshrrev_b16_e32 v42, 10, v26
	v_mul_lo_u16_e32 v26, 6, v42
	v_sub_u16_e32 v43, v10, v26
	v_mul_lo_u16_e32 v26, 3, v43
	v_lshlrev_b32_sdwa v30, v15, v26 dst_sel:DWORD dst_unused:UNUSED_PAD src0_sel:DWORD src1_sel:BYTE_0
	global_load_dwordx4 v[26:29], v30, s[8:9]
	global_load_dwordx2 v[40:41], v30, s[8:9] offset:16
	ds_read2_b64 v[30:33], v11 offset0:160 offset1:192
	v_mul_lo_u16_e32 v42, 24, v42
	v_mul_u32_u24_e32 v36, 24, v36
	v_mul_u32_u24_e32 v34, 24, v34
	v_or_b32_e32 v56, v42, v43
	v_or_b32_sdwa v57, v36, v37 dst_sel:DWORD dst_unused:UNUSED_PAD src0_sel:DWORD src1_sel:BYTE_0
	v_or_b32_sdwa v59, v34, v35 dst_sel:DWORD dst_unused:UNUSED_PAD src0_sel:DWORD src1_sel:BYTE_0
	ds_read2_b64 v[34:37], v13 offset0:96 offset1:128
	ds_read_b64 v[42:43], v11 offset:2816
	s_movk_i32 s0, 0xffd8
	v_mad_i32_i24 v58, v8, s0, v21
	v_lshl_add_u32 v21, v12, 3, v7
	v_lshl_add_u32 v57, v57, 3, v7
	;; [unrolled: 1-line block ×3, first 2 shown]
	v_cmp_gt_u32_e64 s[0:1], 24, v10
	s_waitcnt vmcnt(5) lgkmcnt(2)
	v_pk_mul_f32 v[44:45], v[30:31], v[16:17] op_sel:[0,1]
	s_nop 0
	v_pk_fma_f32 v[46:47], v[30:31], v[16:17], v[44:45] op_sel:[0,0,1] op_sel_hi:[1,1,0]
	v_pk_fma_f32 v[16:17], v[30:31], v[16:17], v[44:45] op_sel:[0,0,1] op_sel_hi:[1,0,0] neg_lo:[0,0,1] neg_hi:[0,0,1]
	ds_read_b64 v[44:45], v21
	ds_read_b64 v[48:49], v58
	ds_read_b64 v[50:51], v20
	v_mov_b32_e32 v16, v19
	v_mov_b32_e32 v47, v17
	s_waitcnt lgkmcnt(4)
	v_pk_mul_f32 v[16:17], v[36:37], v[16:17] op_sel_hi:[1,0]
	s_nop 0
	v_pk_fma_f32 v[30:31], v[36:37], v[18:19], v[16:17] op_sel:[0,0,1] op_sel_hi:[1,1,0]
	v_pk_fma_f32 v[36:37], v[36:37], v[18:19], v[16:17] op_sel:[0,0,1] op_sel_hi:[1,0,0] neg_lo:[0,0,1] neg_hi:[0,0,1]
	s_waitcnt vmcnt(4) lgkmcnt(3)
	v_pk_mul_f32 v[16:17], v[42:43], v[0:1] op_sel:[0,1]
	v_mov_b32_e32 v31, v37
	v_pk_fma_f32 v[52:53], v[42:43], v[0:1], v[16:17] op_sel:[0,0,1] op_sel_hi:[1,1,0]
	v_pk_fma_f32 v[0:1], v[42:43], v[0:1], v[16:17] op_sel:[0,0,1] op_sel_hi:[1,0,0] neg_lo:[0,0,1] neg_hi:[0,0,1]
	ds_read2_b64 v[16:19], v11 offset0:96 offset1:128
	s_waitcnt vmcnt(3)
	v_mov_b32_e32 v0, v25
	v_mov_b32_e32 v53, v1
	v_pk_mul_f32 v[0:1], v[34:35], v[0:1] op_sel_hi:[1,0]
	s_waitcnt lgkmcnt(3)
	v_pk_add_f32 v[30:31], v[44:45], v[30:31] neg_lo:[0,1] neg_hi:[0,1]
	v_pk_fma_f32 v[36:37], v[34:35], v[24:25], v[0:1] op_sel:[0,0,1] op_sel_hi:[1,1,0]
	v_pk_fma_f32 v[0:1], v[34:35], v[24:25], v[0:1] op_sel:[0,0,1] op_sel_hi:[1,0,0] neg_lo:[0,0,1] neg_hi:[0,0,1]
	s_waitcnt lgkmcnt(0)
	v_pk_mul_f32 v[24:25], v[22:23], v[18:19] op_sel:[0,1]
	v_and_b32_e32 v0, 0xff, v56
	v_pk_fma_f32 v[34:35], v[22:23], v[18:19], v[24:25] op_sel:[0,0,1] op_sel_hi:[1,1,0]
	v_pk_fma_f32 v[18:19], v[22:23], v[18:19], v[24:25] op_sel:[0,0,1] op_sel_hi:[1,0,0] neg_lo:[1,0,0] neg_hi:[1,0,0]
	ds_read2_b64 v[22:25], v14 offset0:32 offset1:64
	v_lshl_add_u32 v56, v0, 3, v7
	v_mov_b32_e32 v37, v1
	v_mov_b32_e32 v35, v19
	s_waitcnt vmcnt(2) lgkmcnt(0)
	v_pk_mul_f32 v[0:1], v[24:25], v[38:39] op_sel:[0,1]
	s_barrier
	v_pk_fma_f32 v[18:19], v[24:25], v[38:39], v[0:1] op_sel:[0,0,1] op_sel_hi:[1,1,0]
	v_pk_fma_f32 v[0:1], v[24:25], v[38:39], v[0:1] op_sel:[0,0,1] op_sel_hi:[1,0,0] neg_lo:[0,0,1] neg_hi:[0,0,1]
	s_nop 0
	v_mov_b32_e32 v19, v1
	v_pk_add_f32 v[0:1], v[48:49], v[36:37] neg_lo:[0,1] neg_hi:[0,1]
	s_waitcnt vmcnt(1)
	v_pk_mul_f32 v[36:37], v[26:27], v[16:17] op_sel:[0,1]
	v_pk_add_f32 v[18:19], v[34:35], v[18:19] neg_lo:[0,1] neg_hi:[0,1]
	v_pk_fma_f32 v[38:39], v[26:27], v[16:17], v[36:37] op_sel:[0,0,1] op_sel_hi:[1,1,0]
	v_pk_fma_f32 v[16:17], v[26:27], v[16:17], v[36:37] op_sel:[0,0,1] op_sel_hi:[1,0,0] neg_lo:[1,0,0] neg_hi:[1,0,0]
	v_pk_fma_f32 v[24:25], v[48:49], 2.0, v[0:1] op_sel_hi:[1,0,1] neg_lo:[0,0,1] neg_hi:[0,0,1]
	v_mov_b32_e32 v39, v17
	v_pk_mul_f32 v[16:17], v[28:29], v[32:33] op_sel:[0,1]
	v_pk_fma_f32 v[34:35], v[34:35], 2.0, v[18:19] op_sel_hi:[1,0,1] neg_lo:[0,0,1] neg_hi:[0,0,1]
	v_pk_fma_f32 v[26:27], v[28:29], v[32:33], v[16:17] op_sel:[0,0,1] op_sel_hi:[1,1,0]
	v_pk_fma_f32 v[16:17], v[28:29], v[32:33], v[16:17] op_sel:[0,0,1] op_sel_hi:[1,0,0] neg_lo:[1,0,0] neg_hi:[1,0,0]
	v_pk_add_f32 v[34:35], v[24:25], v[34:35] neg_lo:[0,1] neg_hi:[0,1]
	v_mov_b32_e32 v27, v17
	s_waitcnt vmcnt(0)
	v_pk_mul_f32 v[16:17], v[40:41], v[22:23] op_sel:[0,1]
	v_pk_fma_f32 v[42:43], v[44:45], 2.0, v[30:31] op_sel_hi:[1,0,1] neg_lo:[0,0,1] neg_hi:[0,0,1]
	v_pk_fma_f32 v[28:29], v[40:41], v[22:23], v[16:17] op_sel:[0,0,1] op_sel_hi:[1,1,0]
	v_pk_fma_f32 v[16:17], v[40:41], v[22:23], v[16:17] op_sel:[0,0,1] op_sel_hi:[1,0,0] neg_lo:[1,0,0] neg_hi:[1,0,0]
	v_pk_add_f32 v[44:45], v[46:47], v[52:53] neg_lo:[0,1] neg_hi:[0,1]
	v_mov_b32_e32 v29, v17
	v_pk_add_f32 v[16:17], v[50:51], v[26:27] neg_lo:[0,1] neg_hi:[0,1]
	v_pk_add_f32 v[26:27], v[38:39], v[28:29] neg_lo:[0,1] neg_hi:[0,1]
	v_pk_fma_f32 v[22:23], v[50:51], 2.0, v[16:17] op_sel_hi:[1,0,1] neg_lo:[0,0,1] neg_hi:[0,0,1]
	v_pk_fma_f32 v[28:29], v[38:39], 2.0, v[26:27] op_sel_hi:[1,0,1] neg_lo:[0,0,1] neg_hi:[0,0,1]
	v_pk_add_f32 v[32:33], v[16:17], v[26:27] op_sel:[0,1] op_sel_hi:[1,0]
	v_pk_add_f32 v[26:27], v[16:17], v[26:27] op_sel:[0,1] op_sel_hi:[1,0] neg_lo:[0,1] neg_hi:[0,1]
	v_pk_add_f32 v[28:29], v[22:23], v[28:29] neg_lo:[0,1] neg_hi:[0,1]
	v_mov_b32_e32 v33, v27
	v_pk_fma_f32 v[22:23], v[22:23], 2.0, v[28:29] op_sel_hi:[1,0,1] neg_lo:[0,0,1] neg_hi:[0,0,1]
	v_pk_fma_f32 v[16:17], v[16:17], 2.0, v[32:33] op_sel_hi:[1,0,1] neg_lo:[0,0,1] neg_hi:[0,0,1]
	ds_write2_b64 v56, v[22:23], v[16:17] offset1:6
	ds_write2_b64 v56, v[28:29], v[32:33] offset0:12 offset1:18
	v_pk_add_f32 v[16:17], v[0:1], v[18:19] op_sel:[0,1] op_sel_hi:[1,0]
	v_pk_add_f32 v[18:19], v[0:1], v[18:19] op_sel:[0,1] op_sel_hi:[1,0] neg_lo:[0,1] neg_hi:[0,1]
	v_pk_fma_f32 v[24:25], v[24:25], 2.0, v[34:35] op_sel_hi:[1,0,1] neg_lo:[0,0,1] neg_hi:[0,0,1]
	v_mov_b32_e32 v17, v19
	v_pk_fma_f32 v[0:1], v[0:1], 2.0, v[16:17] op_sel_hi:[1,0,1] neg_lo:[0,0,1] neg_hi:[0,0,1]
	v_pk_fma_f32 v[46:47], v[46:47], 2.0, v[44:45] op_sel_hi:[1,0,1] neg_lo:[0,0,1] neg_hi:[0,0,1]
	ds_write2_b64 v57, v[24:25], v[0:1] offset1:6
	ds_write2_b64 v57, v[34:35], v[16:17] offset0:12 offset1:18
	v_pk_add_f32 v[0:1], v[30:31], v[44:45] op_sel:[0,1] op_sel_hi:[1,0]
	v_pk_add_f32 v[16:17], v[30:31], v[44:45] op_sel:[0,1] op_sel_hi:[1,0] neg_lo:[0,1] neg_hi:[0,1]
	v_pk_add_f32 v[46:47], v[42:43], v[46:47] neg_lo:[0,1] neg_hi:[0,1]
	v_mov_b32_e32 v1, v17
	v_pk_fma_f32 v[42:43], v[42:43], 2.0, v[46:47] op_sel_hi:[1,0,1] neg_lo:[0,0,1] neg_hi:[0,0,1]
	v_pk_fma_f32 v[16:17], v[30:31], 2.0, v[0:1] op_sel_hi:[1,0,1] neg_lo:[0,0,1] neg_hi:[0,0,1]
	v_lshrrev_b16_e32 v56, 12, v54
	ds_write2_b64 v59, v[42:43], v[16:17] offset1:6
	ds_write2_b64 v59, v[46:47], v[0:1] offset0:12 offset1:18
	v_mul_lo_u16_e32 v0, 24, v56
	v_sub_u16_e32 v57, v12, v0
	v_mul_u32_u24_sdwa v0, v57, v15 dst_sel:DWORD dst_unused:UNUSED_PAD src0_sel:BYTE_0 src1_sel:DWORD
	v_lshlrev_b32_e32 v0, 3, v0
	s_waitcnt lgkmcnt(0)
	s_barrier
	global_load_dwordx4 v[16:19], v0, s[8:9] offset:144
	global_load_dwordx2 v[38:39], v0, s[8:9] offset:160
	v_lshrrev_b16_e32 v44, 12, v55
	v_mul_lo_u16_e32 v0, 24, v44
	v_sub_u16_e32 v45, v8, v0
	v_mul_u32_u24_sdwa v0, v45, v15 dst_sel:DWORD dst_unused:UNUSED_PAD src0_sel:BYTE_0 src1_sel:DWORD
	v_lshlrev_b32_e32 v0, 3, v0
	global_load_dwordx4 v[22:25], v0, s[8:9] offset:144
	global_load_dwordx2 v[40:41], v0, s[8:9] offset:160
	v_subrev_u32_e32 v0, 24, v10
	v_cndmask_b32_e64 v15, v0, v10, s[0:1]
	v_mul_i32_i24_e32 v0, 3, v15
	v_mov_b32_e32 v1, 0
	v_lshl_add_u64 v[30:31], v[0:1], 3, s[8:9]
	global_load_dwordx4 v[26:29], v[30:31], off offset:144
	global_load_dwordx2 v[42:43], v[30:31], off offset:160
	v_mov_b32_e32 v0, 0x60
	v_cmp_lt_u32_e64 s[0:1], 23, v10
	ds_read2_b64 v[30:33], v11 offset0:160 offset1:192
	ds_read2_b64 v[34:37], v13 offset0:96 offset1:128
	v_cndmask_b32_e64 v0, 0, v0, s[0:1]
	v_or_b32_e32 v15, v0, v15
	v_mul_u32_u24_e32 v0, 0x60, v44
	v_or_b32_sdwa v59, v0, v45 dst_sel:DWORD dst_unused:UNUSED_PAD src0_sel:DWORD src1_sel:BYTE_0
	ds_read_b64 v[44:45], v11 offset:2816
	v_cmp_ne_u32_e64 s[0:1], 0, v10
	s_waitcnt vmcnt(5) lgkmcnt(2)
	v_pk_mul_f32 v[46:47], v[30:31], v[16:17] op_sel:[0,1]
	s_nop 0
	v_pk_fma_f32 v[48:49], v[30:31], v[16:17], v[46:47] op_sel:[0,0,1] op_sel_hi:[1,1,0]
	v_pk_fma_f32 v[16:17], v[30:31], v[16:17], v[46:47] op_sel:[0,0,1] op_sel_hi:[1,0,0] neg_lo:[0,0,1] neg_hi:[0,0,1]
	v_mov_b32_e32 v0, v19
	v_mov_b32_e32 v49, v17
	s_waitcnt lgkmcnt(1)
	v_pk_mul_f32 v[16:17], v[36:37], v[0:1] op_sel_hi:[1,0]
	ds_read_b64 v[46:47], v21
	ds_read_b64 v[50:51], v58
	;; [unrolled: 1-line block ×3, first 2 shown]
	v_pk_fma_f32 v[30:31], v[36:37], v[18:19], v[16:17] op_sel:[0,0,1] op_sel_hi:[1,1,0]
	v_pk_fma_f32 v[36:37], v[36:37], v[18:19], v[16:17] op_sel:[0,0,1] op_sel_hi:[1,0,0] neg_lo:[0,0,1] neg_hi:[0,0,1]
	s_waitcnt vmcnt(4) lgkmcnt(3)
	v_pk_mul_f32 v[16:17], v[44:45], v[38:39] op_sel:[0,1]
	v_mov_b32_e32 v31, v37
	v_pk_fma_f32 v[54:55], v[44:45], v[38:39], v[16:17] op_sel:[0,0,1] op_sel_hi:[1,1,0]
	v_pk_fma_f32 v[38:39], v[44:45], v[38:39], v[16:17] op_sel:[0,0,1] op_sel_hi:[1,0,0] neg_lo:[0,0,1] neg_hi:[0,0,1]
	ds_read2_b64 v[16:19], v11 offset0:96 offset1:128
	s_waitcnt vmcnt(3)
	v_pk_mul_f32 v[36:37], v[24:25], v[34:35] op_sel:[0,1]
	v_mov_b32_e32 v55, v39
	v_pk_fma_f32 v[38:39], v[24:25], v[34:35], v[36:37] op_sel:[0,0,1] op_sel_hi:[1,1,0]
	v_pk_fma_f32 v[34:35], v[24:25], v[34:35], v[36:37] op_sel:[0,0,1] op_sel_hi:[1,0,0] neg_lo:[1,0,0] neg_hi:[1,0,0]
	s_waitcnt lgkmcnt(0)
	v_pk_mul_f32 v[24:25], v[22:23], v[18:19] op_sel:[0,1]
	v_mov_b32_e32 v39, v35
	v_pk_fma_f32 v[36:37], v[22:23], v[18:19], v[24:25] op_sel:[0,0,1] op_sel_hi:[1,1,0]
	v_pk_fma_f32 v[18:19], v[22:23], v[18:19], v[24:25] op_sel:[0,0,1] op_sel_hi:[1,0,0] neg_lo:[1,0,0] neg_hi:[1,0,0]
	ds_read2_b64 v[22:25], v14 offset0:32 offset1:64
	v_mul_u32_u24_e32 v18, 0x60, v56
	v_or_b32_sdwa v18, v18, v57 dst_sel:DWORD dst_unused:UNUSED_PAD src0_sel:DWORD src1_sel:BYTE_0
	v_lshl_add_u32 v56, v18, 3, v7
	v_mov_b32_e32 v37, v19
	s_waitcnt vmcnt(2) lgkmcnt(0)
	v_pk_mul_f32 v[18:19], v[24:25], v[40:41] op_sel:[0,1]
	v_lshl_add_u32 v0, v15, 3, v7
	v_pk_fma_f32 v[34:35], v[24:25], v[40:41], v[18:19] op_sel:[0,0,1] op_sel_hi:[1,1,0]
	v_pk_fma_f32 v[18:19], v[24:25], v[40:41], v[18:19] op_sel:[0,0,1] op_sel_hi:[1,0,0] neg_lo:[0,0,1] neg_hi:[0,0,1]
	s_nop 0
	v_mov_b32_e32 v35, v19
	v_pk_add_f32 v[18:19], v[50:51], v[38:39] neg_lo:[0,1] neg_hi:[0,1]
	s_waitcnt vmcnt(1)
	v_pk_mul_f32 v[38:39], v[26:27], v[16:17] op_sel:[0,1]
	v_pk_add_f32 v[34:35], v[36:37], v[34:35] neg_lo:[0,1] neg_hi:[0,1]
	v_pk_fma_f32 v[40:41], v[26:27], v[16:17], v[38:39] op_sel:[0,0,1] op_sel_hi:[1,1,0]
	v_pk_fma_f32 v[16:17], v[26:27], v[16:17], v[38:39] op_sel:[0,0,1] op_sel_hi:[1,0,0] neg_lo:[1,0,0] neg_hi:[1,0,0]
	v_pk_fma_f32 v[24:25], v[50:51], 2.0, v[18:19] op_sel_hi:[1,0,1] neg_lo:[0,0,1] neg_hi:[0,0,1]
	v_mov_b32_e32 v41, v17
	v_pk_mul_f32 v[16:17], v[28:29], v[32:33] op_sel:[0,1]
	v_pk_fma_f32 v[36:37], v[36:37], 2.0, v[34:35] op_sel_hi:[1,0,1] neg_lo:[0,0,1] neg_hi:[0,0,1]
	v_pk_fma_f32 v[26:27], v[28:29], v[32:33], v[16:17] op_sel:[0,0,1] op_sel_hi:[1,1,0]
	v_pk_fma_f32 v[16:17], v[28:29], v[32:33], v[16:17] op_sel:[0,0,1] op_sel_hi:[1,0,0] neg_lo:[1,0,0] neg_hi:[1,0,0]
	s_barrier
	v_mov_b32_e32 v27, v17
	s_waitcnt vmcnt(0)
	v_pk_mul_f32 v[16:17], v[42:43], v[22:23] op_sel:[0,1]
	s_nop 0
	v_pk_fma_f32 v[28:29], v[42:43], v[22:23], v[16:17] op_sel:[0,0,1] op_sel_hi:[1,1,0]
	v_pk_fma_f32 v[16:17], v[42:43], v[22:23], v[16:17] op_sel:[0,0,1] op_sel_hi:[1,0,0] neg_lo:[1,0,0] neg_hi:[1,0,0]
	v_pk_add_f32 v[30:31], v[46:47], v[30:31] neg_lo:[0,1] neg_hi:[0,1]
	v_mov_b32_e32 v29, v17
	v_pk_add_f32 v[16:17], v[52:53], v[26:27] neg_lo:[0,1] neg_hi:[0,1]
	v_pk_add_f32 v[26:27], v[40:41], v[28:29] neg_lo:[0,1] neg_hi:[0,1]
	v_pk_fma_f32 v[22:23], v[52:53], 2.0, v[16:17] op_sel_hi:[1,0,1] neg_lo:[0,0,1] neg_hi:[0,0,1]
	v_pk_fma_f32 v[28:29], v[40:41], 2.0, v[26:27] op_sel_hi:[1,0,1] neg_lo:[0,0,1] neg_hi:[0,0,1]
	v_pk_add_f32 v[32:33], v[16:17], v[26:27] op_sel:[0,1] op_sel_hi:[1,0]
	v_pk_add_f32 v[26:27], v[16:17], v[26:27] op_sel:[0,1] op_sel_hi:[1,0] neg_lo:[0,1] neg_hi:[0,1]
	v_pk_add_f32 v[28:29], v[22:23], v[28:29] neg_lo:[0,1] neg_hi:[0,1]
	v_mov_b32_e32 v33, v27
	v_pk_fma_f32 v[22:23], v[22:23], 2.0, v[28:29] op_sel_hi:[1,0,1] neg_lo:[0,0,1] neg_hi:[0,0,1]
	v_pk_fma_f32 v[16:17], v[16:17], 2.0, v[32:33] op_sel_hi:[1,0,1] neg_lo:[0,0,1] neg_hi:[0,0,1]
	ds_write2_b64 v0, v[22:23], v[16:17] offset1:24
	ds_write2_b64 v0, v[28:29], v[32:33] offset0:48 offset1:72
	v_pk_add_f32 v[16:17], v[18:19], v[34:35] op_sel:[0,1] op_sel_hi:[1,0]
	v_pk_add_f32 v[22:23], v[18:19], v[34:35] op_sel:[0,1] op_sel_hi:[1,0] neg_lo:[0,1] neg_hi:[0,1]
	v_pk_add_f32 v[36:37], v[24:25], v[36:37] neg_lo:[0,1] neg_hi:[0,1]
	v_mov_b32_e32 v17, v23
	v_lshl_add_u32 v15, v59, 3, v7
	v_pk_fma_f32 v[44:45], v[46:47], 2.0, v[30:31] op_sel_hi:[1,0,1] neg_lo:[0,0,1] neg_hi:[0,0,1]
	v_pk_add_f32 v[46:47], v[48:49], v[54:55] neg_lo:[0,1] neg_hi:[0,1]
	v_pk_fma_f32 v[24:25], v[24:25], 2.0, v[36:37] op_sel_hi:[1,0,1] neg_lo:[0,0,1] neg_hi:[0,0,1]
	v_pk_fma_f32 v[18:19], v[18:19], 2.0, v[16:17] op_sel_hi:[1,0,1] neg_lo:[0,0,1] neg_hi:[0,0,1]
	;; [unrolled: 1-line block ×3, first 2 shown]
	ds_write2_b64 v15, v[24:25], v[18:19] offset1:24
	ds_write2_b64 v15, v[36:37], v[16:17] offset0:48 offset1:72
	v_pk_add_f32 v[16:17], v[30:31], v[46:47] op_sel:[0,1] op_sel_hi:[1,0]
	v_pk_add_f32 v[18:19], v[30:31], v[46:47] op_sel:[0,1] op_sel_hi:[1,0] neg_lo:[0,1] neg_hi:[0,1]
	v_mul_i32_i24_e32 v0, 3, v8
	v_pk_add_f32 v[48:49], v[44:45], v[48:49] neg_lo:[0,1] neg_hi:[0,1]
	v_mov_b32_e32 v17, v19
	v_lshl_add_u64 v[26:27], v[0:1], 3, s[8:9]
	v_mul_i32_i24_e32 v0, 3, v12
	v_pk_fma_f32 v[44:45], v[44:45], 2.0, v[48:49] op_sel_hi:[1,0,1] neg_lo:[0,0,1] neg_hi:[0,0,1]
	v_pk_fma_f32 v[18:19], v[30:31], 2.0, v[16:17] op_sel_hi:[1,0,1] neg_lo:[0,0,1] neg_hi:[0,0,1]
	v_lshl_add_u64 v[28:29], v[0:1], 3, s[8:9]
	ds_write2_b64 v56, v[44:45], v[18:19] offset1:24
	ds_write2_b64 v56, v[48:49], v[16:17] offset0:48 offset1:72
	s_waitcnt lgkmcnt(0)
	s_barrier
	global_load_dwordx4 v[16:19], v[28:29], off offset:720
	global_load_dwordx2 v[42:43], v[28:29], off offset:736
	global_load_dwordx4 v[22:25], v[26:27], off offset:720
	global_load_dwordx2 v[44:45], v[26:27], off offset:736
	v_mul_u32_u24_e32 v0, 3, v10
	v_lshlrev_b32_e32 v0, 3, v0
	global_load_dwordx4 v[26:29], v0, s[8:9] offset:720
	global_load_dwordx2 v[46:47], v0, s[8:9] offset:736
	ds_read2_b64 v[30:33], v11 offset0:160 offset1:192
	ds_read2_b64 v[34:37], v11 offset0:96 offset1:128
	;; [unrolled: 1-line block ×3, first 2 shown]
	ds_read_b64 v[48:49], v11 offset:2816
	s_waitcnt vmcnt(5) lgkmcnt(3)
	v_pk_mul_f32 v[50:51], v[30:31], v[16:17] op_sel:[0,1]
	s_nop 0
	v_pk_fma_f32 v[52:53], v[30:31], v[16:17], v[50:51] op_sel:[0,0,1] op_sel_hi:[1,1,0]
	v_pk_fma_f32 v[16:17], v[30:31], v[16:17], v[50:51] op_sel:[0,0,1] op_sel_hi:[1,0,0] neg_lo:[0,0,1] neg_hi:[0,0,1]
	v_mov_b32_e32 v0, v19
	v_mov_b32_e32 v53, v17
	s_waitcnt lgkmcnt(1)
	v_pk_mul_f32 v[16:17], v[40:41], v[0:1] op_sel_hi:[1,0]
	v_add_u32_e32 v0, 0x400, v58
	v_pk_fma_f32 v[30:31], v[40:41], v[18:19], v[16:17] op_sel:[0,0,1] op_sel_hi:[1,1,0]
	v_pk_fma_f32 v[18:19], v[40:41], v[18:19], v[16:17] op_sel:[0,0,1] op_sel_hi:[1,0,0] neg_lo:[0,0,1] neg_hi:[0,0,1]
	ds_read_b64 v[40:41], v21
	ds_read_b64 v[50:51], v58
	;; [unrolled: 1-line block ×3, first 2 shown]
	s_waitcnt vmcnt(4) lgkmcnt(3)
	v_pk_mul_f32 v[16:17], v[48:49], v[42:43] op_sel:[0,1]
	v_mov_b32_e32 v31, v19
	v_pk_fma_f32 v[56:57], v[48:49], v[42:43], v[16:17] op_sel:[0,0,1] op_sel_hi:[1,1,0]
	v_pk_fma_f32 v[42:43], v[48:49], v[42:43], v[16:17] op_sel:[0,0,1] op_sel_hi:[1,0,0] neg_lo:[0,0,1] neg_hi:[0,0,1]
	ds_read2_b64 v[14:17], v14 offset0:32 offset1:64
	v_mov_b32_e32 v57, v43
	s_waitcnt lgkmcnt(3)
	v_pk_add_f32 v[18:19], v[40:41], v[30:31] neg_lo:[0,1] neg_hi:[0,1]
	s_waitcnt vmcnt(3)
	v_pk_mul_f32 v[48:49], v[24:25], v[38:39] op_sel:[0,1]
	v_pk_fma_f32 v[30:31], v[40:41], 2.0, v[18:19] op_sel_hi:[1,0,1] neg_lo:[0,0,1] neg_hi:[0,0,1]
	v_pk_add_f32 v[40:41], v[52:53], v[56:57] neg_lo:[0,1] neg_hi:[0,1]
	s_waitcnt lgkmcnt(0)
	v_pk_fma_f32 v[42:43], v[52:53], 2.0, v[40:41] op_sel_hi:[1,0,1] neg_lo:[0,0,1] neg_hi:[0,0,1]
	v_pk_fma_f32 v[52:53], v[24:25], v[38:39], v[48:49] op_sel:[0,0,1] op_sel_hi:[1,1,0]
	v_pk_fma_f32 v[24:25], v[24:25], v[38:39], v[48:49] op_sel:[0,0,1] op_sel_hi:[1,0,0] neg_lo:[1,0,0] neg_hi:[1,0,0]
	v_pk_mul_f32 v[38:39], v[22:23], v[36:37] op_sel:[0,1]
	v_mov_b32_e32 v53, v25
	v_pk_fma_f32 v[48:49], v[22:23], v[36:37], v[38:39] op_sel:[0,0,1] op_sel_hi:[1,1,0]
	v_pk_fma_f32 v[22:23], v[22:23], v[36:37], v[38:39] op_sel:[0,0,1] op_sel_hi:[1,0,0] neg_lo:[1,0,0] neg_hi:[1,0,0]
	s_waitcnt vmcnt(1)
	v_pk_mul_f32 v[38:39], v[26:27], v[34:35] op_sel:[0,1]
	v_mov_b32_e32 v49, v23
	v_pk_mul_f32 v[22:23], v[16:17], v[44:45] op_sel:[0,1]
	s_barrier
	v_pk_fma_f32 v[24:25], v[16:17], v[44:45], v[22:23] op_sel:[0,0,1] op_sel_hi:[1,1,0]
	v_pk_fma_f32 v[16:17], v[16:17], v[44:45], v[22:23] op_sel:[0,0,1] op_sel_hi:[1,0,0] neg_lo:[0,0,1] neg_hi:[0,0,1]
	v_pk_fma_f32 v[44:45], v[26:27], v[34:35], v[38:39] op_sel:[0,0,1] op_sel_hi:[1,1,0]
	v_pk_fma_f32 v[26:27], v[26:27], v[34:35], v[38:39] op_sel:[0,0,1] op_sel_hi:[1,0,0] neg_lo:[1,0,0] neg_hi:[1,0,0]
	v_mov_b32_e32 v25, v17
	v_mov_b32_e32 v45, v27
	v_pk_mul_f32 v[26:27], v[28:29], v[32:33] op_sel:[0,1]
	v_pk_add_f32 v[16:17], v[50:51], v[52:53] neg_lo:[0,1] neg_hi:[0,1]
	v_pk_fma_f32 v[34:35], v[28:29], v[32:33], v[26:27] op_sel:[0,0,1] op_sel_hi:[1,1,0]
	v_pk_fma_f32 v[26:27], v[28:29], v[32:33], v[26:27] op_sel:[0,0,1] op_sel_hi:[1,0,0] neg_lo:[1,0,0] neg_hi:[1,0,0]
	v_pk_add_f32 v[24:25], v[48:49], v[24:25] neg_lo:[0,1] neg_hi:[0,1]
	v_mov_b32_e32 v35, v27
	s_waitcnt vmcnt(0)
	v_pk_mul_f32 v[26:27], v[46:47], v[14:15] op_sel:[0,1]
	v_pk_fma_f32 v[22:23], v[50:51], 2.0, v[16:17] op_sel_hi:[1,0,1] neg_lo:[0,0,1] neg_hi:[0,0,1]
	v_pk_fma_f32 v[28:29], v[46:47], v[14:15], v[26:27] op_sel:[0,0,1] op_sel_hi:[1,1,0]
	v_pk_fma_f32 v[14:15], v[46:47], v[14:15], v[26:27] op_sel:[0,0,1] op_sel_hi:[1,0,0] neg_lo:[1,0,0] neg_hi:[1,0,0]
	v_pk_fma_f32 v[36:37], v[48:49], 2.0, v[24:25] op_sel_hi:[1,0,1] neg_lo:[0,0,1] neg_hi:[0,0,1]
	v_mov_b32_e32 v29, v15
	v_pk_add_f32 v[14:15], v[54:55], v[34:35] neg_lo:[0,1] neg_hi:[0,1]
	v_pk_add_f32 v[28:29], v[44:45], v[28:29] neg_lo:[0,1] neg_hi:[0,1]
	v_pk_fma_f32 v[26:27], v[54:55], 2.0, v[14:15] op_sel_hi:[1,0,1] neg_lo:[0,0,1] neg_hi:[0,0,1]
	v_pk_fma_f32 v[32:33], v[44:45], 2.0, v[28:29] op_sel_hi:[1,0,1] neg_lo:[0,0,1] neg_hi:[0,0,1]
	v_pk_add_f32 v[34:35], v[14:15], v[28:29] op_sel:[0,1] op_sel_hi:[1,0]
	v_pk_add_f32 v[28:29], v[14:15], v[28:29] op_sel:[0,1] op_sel_hi:[1,0] neg_lo:[0,1] neg_hi:[0,1]
	v_pk_add_f32 v[32:33], v[26:27], v[32:33] neg_lo:[0,1] neg_hi:[0,1]
	v_mov_b32_e32 v35, v29
	v_pk_fma_f32 v[26:27], v[26:27], 2.0, v[32:33] op_sel_hi:[1,0,1] neg_lo:[0,0,1] neg_hi:[0,0,1]
	v_pk_fma_f32 v[14:15], v[14:15], 2.0, v[34:35] op_sel_hi:[1,0,1] neg_lo:[0,0,1] neg_hi:[0,0,1]
	ds_write2_b64 v11, v[26:27], v[14:15] offset1:96
	ds_write2_b64 v13, v[32:33], v[34:35] offset0:64 offset1:160
	v_pk_add_f32 v[14:15], v[16:17], v[24:25] op_sel:[0,1] op_sel_hi:[1,0]
	v_pk_add_f32 v[24:25], v[16:17], v[24:25] op_sel:[0,1] op_sel_hi:[1,0] neg_lo:[0,1] neg_hi:[0,1]
	v_pk_add_f32 v[36:37], v[22:23], v[36:37] neg_lo:[0,1] neg_hi:[0,1]
	v_mov_b32_e32 v15, v25
	v_pk_fma_f32 v[22:23], v[22:23], 2.0, v[36:37] op_sel_hi:[1,0,1] neg_lo:[0,0,1] neg_hi:[0,0,1]
	v_pk_fma_f32 v[16:17], v[16:17], 2.0, v[14:15] op_sel_hi:[1,0,1] neg_lo:[0,0,1] neg_hi:[0,0,1]
	ds_write2_b64 v58, v[22:23], v[16:17] offset1:96
	ds_write2_b64 v0, v[36:37], v[14:15] offset0:64 offset1:160
	v_pk_add_f32 v[14:15], v[18:19], v[40:41] op_sel:[0,1] op_sel_hi:[1,0]
	v_pk_add_f32 v[16:17], v[18:19], v[40:41] op_sel:[0,1] op_sel_hi:[1,0] neg_lo:[0,1] neg_hi:[0,1]
	v_pk_add_f32 v[42:43], v[30:31], v[42:43] neg_lo:[0,1] neg_hi:[0,1]
	v_mov_b32_e32 v15, v17
	v_pk_fma_f32 v[30:31], v[30:31], 2.0, v[42:43] op_sel_hi:[1,0,1] neg_lo:[0,0,1] neg_hi:[0,0,1]
	v_pk_fma_f32 v[16:17], v[18:19], 2.0, v[14:15] op_sel_hi:[1,0,1] neg_lo:[0,0,1] neg_hi:[0,0,1]
	v_add_u32_e32 v0, 0x400, v21
	ds_write2_b64 v21, v[30:31], v[16:17] offset1:96
	ds_write2_b64 v0, v[42:43], v[14:15] offset0:64 offset1:160
	s_waitcnt lgkmcnt(0)
	s_barrier
	ds_read_b64 v[18:19], v20
	v_sub_u32_e32 v0, v7, v9
                                        ; implicit-def: $vgpr15
                                        ; implicit-def: $vgpr16_vgpr17
	s_and_saveexec_b64 s[4:5], s[0:1]
	s_xor_b64 s[0:1], exec, s[4:5]
	s_cbranch_execz .LBB0_15
; %bb.14:
	v_mov_b32_e32 v11, v1
	v_lshl_add_u64 v[14:15], v[10:11], 3, s[8:9]
	global_load_dwordx2 v[16:17], v[14:15], off offset:3024
	ds_read_b64 v[14:15], v0 offset:3072
	v_mov_b32_e32 v23, 0.5
	v_mov_b32_e32 v24, v23
	s_waitcnt lgkmcnt(0)
	v_pk_add_f32 v[26:27], v[14:15], v[18:19]
	v_pk_add_f32 v[14:15], v[18:19], v[14:15] neg_lo:[0,1] neg_hi:[0,1]
	v_mov_b32_e32 v18, v27
	v_mov_b32_e32 v19, v14
	v_pk_mul_f32 v[18:19], v[18:19], 0.5 op_sel_hi:[1,0]
	s_waitcnt vmcnt(0)
	v_mov_b32_e32 v22, v17
	v_mov_b32_e32 v14, v19
	;; [unrolled: 1-line block ×4, first 2 shown]
	v_pk_mul_f32 v[14:15], v[22:23], v[14:15]
	v_pk_mul_f32 v[28:29], v[16:17], v[18:19] op_sel_hi:[0,1]
	v_pk_fma_f32 v[22:23], v[26:27], v[24:25], v[14:15]
	v_pk_fma_f32 v[24:25], v[26:27], v[24:25], v[14:15] neg_lo:[0,0,1] neg_hi:[0,0,1]
	v_pk_fma_f32 v[14:15], v[16:17], v[18:19], v[22:23] op_sel_hi:[0,1,1] neg_lo:[1,0,0] neg_hi:[1,0,0]
	v_pk_fma_f32 v[16:17], v[16:17], v[18:19], v[24:25] op_sel_hi:[0,1,1] neg_lo:[1,0,0] neg_hi:[1,0,0]
	v_add_f32_e32 v14, v22, v28
                                        ; implicit-def: $vgpr18_vgpr19
.LBB0_15:
	s_andn2_saveexec_b64 s[0:1], s[0:1]
	s_cbranch_execz .LBB0_17
; %bb.16:
	ds_read_b32 v1, v7 offset:1540
	s_waitcnt lgkmcnt(1)
	v_mov_b32_e32 v10, v19
	v_pk_add_f32 v[16:17], v[18:19], v[10:11] neg_lo:[0,1] neg_hi:[0,1]
	v_add_f32_e32 v14, v19, v18
	v_mov_b32_e32 v17, 0
	s_waitcnt lgkmcnt(0)
	v_xor_b32_e32 v1, 0x80000000, v1
	v_mov_b64_e32 v[10:11], 0
	v_mov_b32_e32 v15, v17
	ds_write_b32 v7, v1 offset:1540
.LBB0_17:
	s_or_b64 exec, exec, s[0:1]
	v_mov_b32_e32 v9, 0
	s_waitcnt lgkmcnt(0)
	v_lshl_add_u64 v[18:19], v[8:9], 3, s[8:9]
	global_load_dwordx2 v[18:19], v[18:19], off offset:3024
	v_mov_b32_e32 v13, v9
	v_lshl_add_u64 v[12:13], v[12:13], 3, s[8:9]
	global_load_dwordx2 v[12:13], v[12:13], off offset:3024
	s_add_u32 s0, s8, 0xbd0
	s_addc_u32 s1, s9, 0
	v_lshl_add_u64 v[10:11], v[10:11], 3, s[0:1]
	global_load_dwordx2 v[22:23], v[10:11], off offset:768
	global_load_dwordx2 v[24:25], v[10:11], off offset:1024
	ds_write_b64 v20, v[14:15]
	ds_write_b64 v0, v[16:17] offset:3072
	v_lshl_add_u32 v1, v8, 3, v7
	ds_read_b64 v[14:15], v1
	ds_read_b64 v[16:17], v0 offset:2816
	global_load_dwordx2 v[10:11], v[10:11], off offset:1280
	v_mov_b32_e32 v27, 0.5
	v_mov_b32_e32 v28, v27
	s_waitcnt lgkmcnt(0)
	v_pk_add_f32 v[30:31], v[14:15], v[16:17]
	v_pk_add_f32 v[14:15], v[14:15], v[16:17] neg_lo:[0,1] neg_hi:[0,1]
	v_mov_b32_e32 v16, v31
	v_mov_b32_e32 v17, v14
	v_pk_mul_f32 v[16:17], v[16:17], 0.5 op_sel_hi:[1,0]
	s_waitcnt vmcnt(4)
	v_mov_b32_e32 v29, v19
	v_mov_b32_e32 v31, v16
	;; [unrolled: 1-line block ×4, first 2 shown]
	v_pk_mul_f32 v[28:29], v[30:31], v[28:29]
	s_nop 0
	v_pk_fma_f32 v[30:31], v[26:27], v[14:15], v[28:29] neg_lo:[1,0,0] neg_hi:[1,0,0]
	v_pk_fma_f32 v[14:15], v[26:27], v[14:15], v[28:29]
	v_pk_fma_f32 v[28:29], v[18:19], v[16:17], v[30:31] op_sel_hi:[0,1,1] neg_lo:[1,0,0] neg_hi:[1,0,0]
	v_pk_fma_f32 v[30:31], v[18:19], v[16:17], v[14:15] op_sel_hi:[0,1,1]
	v_pk_fma_f32 v[14:15], v[18:19], v[16:17], v[14:15] op_sel_hi:[0,1,1] neg_lo:[1,0,0] neg_hi:[1,0,0]
	v_mov_b32_e32 v31, v15
	ds_write_b64 v1, v[30:31]
	ds_write_b64 v0, v[28:29] offset:2816
	ds_read_b64 v[14:15], v21
	ds_read_b64 v[16:17], v0 offset:2560
	v_mov_b32_e32 v18, v27
	s_waitcnt vmcnt(3)
	v_mov_b32_e32 v19, v13
	v_mov_b32_e32 v26, v13
	s_waitcnt lgkmcnt(0)
	v_pk_add_f32 v[28:29], v[14:15], v[16:17]
	v_pk_add_f32 v[14:15], v[14:15], v[16:17] neg_lo:[0,1] neg_hi:[0,1]
	v_mov_b32_e32 v16, v29
	v_mov_b32_e32 v17, v14
	v_pk_mul_f32 v[16:17], v[16:17], 0.5 op_sel_hi:[1,0]
	s_nop 0
	v_mov_b32_e32 v29, v16
	v_mov_b32_e32 v14, v17
	v_pk_mul_f32 v[18:19], v[28:29], v[18:19]
	s_nop 0
	v_pk_fma_f32 v[28:29], v[26:27], v[14:15], v[18:19] neg_lo:[1,0,0] neg_hi:[1,0,0]
	v_pk_fma_f32 v[14:15], v[26:27], v[14:15], v[18:19]
	v_pk_fma_f32 v[18:19], v[12:13], v[16:17], v[28:29] op_sel_hi:[0,1,1] neg_lo:[1,0,0] neg_hi:[1,0,0]
	v_pk_fma_f32 v[28:29], v[12:13], v[16:17], v[14:15] op_sel_hi:[0,1,1]
	v_pk_fma_f32 v[12:13], v[12:13], v[16:17], v[14:15] op_sel_hi:[0,1,1] neg_lo:[1,0,0] neg_hi:[1,0,0]
	v_mov_b32_e32 v29, v13
	ds_write_b64 v21, v[28:29]
	ds_write_b64 v0, v[18:19] offset:2560
	ds_read_b64 v[12:13], v20 offset:768
	ds_read_b64 v[14:15], v0 offset:2304
	v_mov_b32_e32 v16, v27
	s_waitcnt vmcnt(2)
	v_mov_b32_e32 v17, v23
	v_mov_b32_e32 v26, v23
	s_waitcnt lgkmcnt(0)
	v_pk_add_f32 v[18:19], v[12:13], v[14:15]
	v_pk_add_f32 v[12:13], v[12:13], v[14:15] neg_lo:[0,1] neg_hi:[0,1]
	v_mov_b32_e32 v14, v19
	v_mov_b32_e32 v15, v12
	v_pk_mul_f32 v[14:15], v[14:15], 0.5 op_sel_hi:[1,0]
	s_nop 0
	v_mov_b32_e32 v19, v14
	v_mov_b32_e32 v12, v15
	v_pk_mul_f32 v[16:17], v[18:19], v[16:17]
	s_nop 0
	v_pk_fma_f32 v[18:19], v[26:27], v[12:13], v[16:17] neg_lo:[1,0,0] neg_hi:[1,0,0]
	v_pk_fma_f32 v[12:13], v[26:27], v[12:13], v[16:17]
	v_pk_fma_f32 v[16:17], v[22:23], v[14:15], v[18:19] op_sel_hi:[0,1,1] neg_lo:[1,0,0] neg_hi:[1,0,0]
	v_pk_fma_f32 v[18:19], v[22:23], v[14:15], v[12:13] op_sel_hi:[0,1,1]
	v_pk_fma_f32 v[12:13], v[22:23], v[14:15], v[12:13] op_sel_hi:[0,1,1] neg_lo:[1,0,0] neg_hi:[1,0,0]
	v_mov_b32_e32 v19, v13
	ds_write_b64 v20, v[18:19] offset:768
	ds_write_b64 v0, v[16:17] offset:2304
	ds_read_b64 v[12:13], v20 offset:1024
	ds_read_b64 v[14:15], v0 offset:2048
	v_mov_b32_e32 v16, v27
	s_waitcnt vmcnt(1)
	v_mov_b32_e32 v17, v25
	v_mov_b32_e32 v26, v25
	s_waitcnt lgkmcnt(0)
	v_pk_add_f32 v[18:19], v[12:13], v[14:15]
	v_pk_add_f32 v[12:13], v[12:13], v[14:15] neg_lo:[0,1] neg_hi:[0,1]
	v_mov_b32_e32 v14, v19
	v_mov_b32_e32 v15, v12
	v_pk_mul_f32 v[14:15], v[14:15], 0.5 op_sel_hi:[1,0]
	s_nop 0
	v_mov_b32_e32 v19, v14
	v_mov_b32_e32 v12, v15
	v_pk_mul_f32 v[16:17], v[18:19], v[16:17]
	s_nop 0
	v_pk_fma_f32 v[18:19], v[26:27], v[12:13], v[16:17] neg_lo:[1,0,0] neg_hi:[1,0,0]
	v_pk_fma_f32 v[12:13], v[26:27], v[12:13], v[16:17]
	v_pk_fma_f32 v[16:17], v[24:25], v[14:15], v[18:19] op_sel_hi:[0,1,1] neg_lo:[1,0,0] neg_hi:[1,0,0]
	v_pk_fma_f32 v[18:19], v[24:25], v[14:15], v[12:13] op_sel_hi:[0,1,1]
	v_pk_fma_f32 v[12:13], v[24:25], v[14:15], v[12:13] op_sel_hi:[0,1,1] neg_lo:[1,0,0] neg_hi:[1,0,0]
	v_mov_b32_e32 v19, v13
	ds_write_b64 v20, v[18:19] offset:1024
	;; [unrolled: 25-line block ×3, first 2 shown]
	ds_write_b64 v0, v[16:17] offset:1792
	s_waitcnt lgkmcnt(0)
	s_barrier
	s_and_saveexec_b64 s[0:1], vcc
	s_cbranch_execz .LBB0_20
; %bb.18:
	v_mul_lo_u32 v8, s3, v4
	v_mad_u64_u32 v[0:1], s[0:1], s2, v4, 0
	v_lshl_add_u32 v4, v6, 3, v7
	v_mul_lo_u32 v5, s2, v5
	ds_read2_b64 v[10:13], v4 offset1:32
	v_add3_u32 v1, v1, v5, v8
	v_lshl_add_u64 v[0:1], v[0:1], 3, s[6:7]
	ds_read2_b64 v[14:17], v4 offset0:64 offset1:96
	v_mov_b32_e32 v7, v9
	v_lshl_add_u64 v[0:1], v[2:3], 3, v[0:1]
	v_lshl_add_u64 v[2:3], v[6:7], 3, v[0:1]
	v_add_u32_e32 v8, 32, v6
	s_waitcnt lgkmcnt(1)
	global_store_dwordx2 v[2:3], v[10:11], off
	v_lshl_add_u64 v[2:3], v[8:9], 3, v[0:1]
	v_add_u32_e32 v8, 64, v6
	global_store_dwordx2 v[2:3], v[12:13], off
	v_lshl_add_u64 v[2:3], v[8:9], 3, v[0:1]
	v_add_u32_e32 v8, 0x60, v6
	ds_read2_b64 v[10:13], v4 offset0:128 offset1:160
	s_waitcnt lgkmcnt(1)
	global_store_dwordx2 v[2:3], v[14:15], off
	v_lshl_add_u64 v[2:3], v[8:9], 3, v[0:1]
	global_store_dwordx2 v[2:3], v[16:17], off
	ds_read2_b64 v[14:17], v4 offset0:192 offset1:224
	v_add_u32_e32 v8, 0x80, v6
	v_lshl_add_u64 v[2:3], v[8:9], 3, v[0:1]
	v_add_u32_e32 v8, 0xa0, v6
	s_waitcnt lgkmcnt(1)
	global_store_dwordx2 v[2:3], v[10:11], off
	v_lshl_add_u64 v[2:3], v[8:9], 3, v[0:1]
	v_add_u32_e32 v8, 0xc0, v6
	v_add_u32_e32 v5, 0x800, v4
	global_store_dwordx2 v[2:3], v[12:13], off
	v_lshl_add_u64 v[2:3], v[8:9], 3, v[0:1]
	v_add_u32_e32 v8, 0xe0, v6
	ds_read2_b64 v[10:13], v5 offset1:32
	s_waitcnt lgkmcnt(1)
	global_store_dwordx2 v[2:3], v[14:15], off
	v_lshl_add_u64 v[2:3], v[8:9], 3, v[0:1]
	global_store_dwordx2 v[2:3], v[16:17], off
	ds_read2_b64 v[14:17], v5 offset0:64 offset1:96
	v_add_u32_e32 v8, 0x100, v6
	v_lshl_add_u64 v[2:3], v[8:9], 3, v[0:1]
	v_add_u32_e32 v8, 0x120, v6
	s_waitcnt lgkmcnt(1)
	global_store_dwordx2 v[2:3], v[10:11], off
	v_lshl_add_u64 v[2:3], v[8:9], 3, v[0:1]
	v_add_u32_e32 v8, 0x140, v6
	global_store_dwordx2 v[2:3], v[12:13], off
	v_lshl_add_u64 v[2:3], v[8:9], 3, v[0:1]
	v_add_u32_e32 v8, 0x160, v6
	s_waitcnt lgkmcnt(0)
	global_store_dwordx2 v[2:3], v[14:15], off
	v_lshl_add_u64 v[2:3], v[8:9], 3, v[0:1]
	v_cmp_eq_u32_e32 vcc, 31, v6
	global_store_dwordx2 v[2:3], v[16:17], off
	s_and_b64 exec, exec, vcc
	s_cbranch_execz .LBB0_20
; %bb.19:
	ds_read_b64 v[2:3], v4 offset:2824
	s_waitcnt lgkmcnt(0)
	global_store_dwordx2 v[0:1], v[2:3], off offset:3072
.LBB0_20:
	s_endpgm
	.section	.rodata,"a",@progbits
	.p2align	6, 0x0
	.amdhsa_kernel fft_rtc_back_len384_factors_6_4_4_4_wgs_128_tpt_32_halfLds_sp_op_CI_CI_unitstride_sbrr_R2C_dirReg
		.amdhsa_group_segment_fixed_size 0
		.amdhsa_private_segment_fixed_size 0
		.amdhsa_kernarg_size 104
		.amdhsa_user_sgpr_count 2
		.amdhsa_user_sgpr_dispatch_ptr 0
		.amdhsa_user_sgpr_queue_ptr 0
		.amdhsa_user_sgpr_kernarg_segment_ptr 1
		.amdhsa_user_sgpr_dispatch_id 0
		.amdhsa_user_sgpr_kernarg_preload_length 0
		.amdhsa_user_sgpr_kernarg_preload_offset 0
		.amdhsa_user_sgpr_private_segment_size 0
		.amdhsa_uses_dynamic_stack 0
		.amdhsa_enable_private_segment 0
		.amdhsa_system_sgpr_workgroup_id_x 1
		.amdhsa_system_sgpr_workgroup_id_y 0
		.amdhsa_system_sgpr_workgroup_id_z 0
		.amdhsa_system_sgpr_workgroup_info 0
		.amdhsa_system_vgpr_workitem_id 0
		.amdhsa_next_free_vgpr 60
		.amdhsa_next_free_sgpr 28
		.amdhsa_accum_offset 60
		.amdhsa_reserve_vcc 1
		.amdhsa_float_round_mode_32 0
		.amdhsa_float_round_mode_16_64 0
		.amdhsa_float_denorm_mode_32 3
		.amdhsa_float_denorm_mode_16_64 3
		.amdhsa_dx10_clamp 1
		.amdhsa_ieee_mode 1
		.amdhsa_fp16_overflow 0
		.amdhsa_tg_split 0
		.amdhsa_exception_fp_ieee_invalid_op 0
		.amdhsa_exception_fp_denorm_src 0
		.amdhsa_exception_fp_ieee_div_zero 0
		.amdhsa_exception_fp_ieee_overflow 0
		.amdhsa_exception_fp_ieee_underflow 0
		.amdhsa_exception_fp_ieee_inexact 0
		.amdhsa_exception_int_div_zero 0
	.end_amdhsa_kernel
	.text
.Lfunc_end0:
	.size	fft_rtc_back_len384_factors_6_4_4_4_wgs_128_tpt_32_halfLds_sp_op_CI_CI_unitstride_sbrr_R2C_dirReg, .Lfunc_end0-fft_rtc_back_len384_factors_6_4_4_4_wgs_128_tpt_32_halfLds_sp_op_CI_CI_unitstride_sbrr_R2C_dirReg
                                        ; -- End function
	.section	.AMDGPU.csdata,"",@progbits
; Kernel info:
; codeLenInByte = 6324
; NumSgprs: 34
; NumVgprs: 60
; NumAgprs: 0
; TotalNumVgprs: 60
; ScratchSize: 0
; MemoryBound: 0
; FloatMode: 240
; IeeeMode: 1
; LDSByteSize: 0 bytes/workgroup (compile time only)
; SGPRBlocks: 4
; VGPRBlocks: 7
; NumSGPRsForWavesPerEU: 34
; NumVGPRsForWavesPerEU: 60
; AccumOffset: 60
; Occupancy: 8
; WaveLimiterHint : 1
; COMPUTE_PGM_RSRC2:SCRATCH_EN: 0
; COMPUTE_PGM_RSRC2:USER_SGPR: 2
; COMPUTE_PGM_RSRC2:TRAP_HANDLER: 0
; COMPUTE_PGM_RSRC2:TGID_X_EN: 1
; COMPUTE_PGM_RSRC2:TGID_Y_EN: 0
; COMPUTE_PGM_RSRC2:TGID_Z_EN: 0
; COMPUTE_PGM_RSRC2:TIDIG_COMP_CNT: 0
; COMPUTE_PGM_RSRC3_GFX90A:ACCUM_OFFSET: 14
; COMPUTE_PGM_RSRC3_GFX90A:TG_SPLIT: 0
	.text
	.p2alignl 6, 3212836864
	.fill 256, 4, 3212836864
	.type	__hip_cuid_2ab47b310b24a148,@object ; @__hip_cuid_2ab47b310b24a148
	.section	.bss,"aw",@nobits
	.globl	__hip_cuid_2ab47b310b24a148
__hip_cuid_2ab47b310b24a148:
	.byte	0                               ; 0x0
	.size	__hip_cuid_2ab47b310b24a148, 1

	.ident	"AMD clang version 19.0.0git (https://github.com/RadeonOpenCompute/llvm-project roc-6.4.0 25133 c7fe45cf4b819c5991fe208aaa96edf142730f1d)"
	.section	".note.GNU-stack","",@progbits
	.addrsig
	.addrsig_sym __hip_cuid_2ab47b310b24a148
	.amdgpu_metadata
---
amdhsa.kernels:
  - .agpr_count:     0
    .args:
      - .actual_access:  read_only
        .address_space:  global
        .offset:         0
        .size:           8
        .value_kind:     global_buffer
      - .offset:         8
        .size:           8
        .value_kind:     by_value
      - .actual_access:  read_only
        .address_space:  global
        .offset:         16
        .size:           8
        .value_kind:     global_buffer
      - .actual_access:  read_only
        .address_space:  global
        .offset:         24
        .size:           8
        .value_kind:     global_buffer
      - .actual_access:  read_only
        .address_space:  global
        .offset:         32
        .size:           8
        .value_kind:     global_buffer
      - .offset:         40
        .size:           8
        .value_kind:     by_value
      - .actual_access:  read_only
        .address_space:  global
        .offset:         48
        .size:           8
        .value_kind:     global_buffer
      - .actual_access:  read_only
        .address_space:  global
        .offset:         56
        .size:           8
        .value_kind:     global_buffer
      - .offset:         64
        .size:           4
        .value_kind:     by_value
      - .actual_access:  read_only
        .address_space:  global
        .offset:         72
        .size:           8
        .value_kind:     global_buffer
      - .actual_access:  read_only
        .address_space:  global
        .offset:         80
        .size:           8
        .value_kind:     global_buffer
      - .actual_access:  read_only
        .address_space:  global
        .offset:         88
        .size:           8
        .value_kind:     global_buffer
      - .actual_access:  write_only
        .address_space:  global
        .offset:         96
        .size:           8
        .value_kind:     global_buffer
    .group_segment_fixed_size: 0
    .kernarg_segment_align: 8
    .kernarg_segment_size: 104
    .language:       OpenCL C
    .language_version:
      - 2
      - 0
    .max_flat_workgroup_size: 128
    .name:           fft_rtc_back_len384_factors_6_4_4_4_wgs_128_tpt_32_halfLds_sp_op_CI_CI_unitstride_sbrr_R2C_dirReg
    .private_segment_fixed_size: 0
    .sgpr_count:     34
    .sgpr_spill_count: 0
    .symbol:         fft_rtc_back_len384_factors_6_4_4_4_wgs_128_tpt_32_halfLds_sp_op_CI_CI_unitstride_sbrr_R2C_dirReg.kd
    .uniform_work_group_size: 1
    .uses_dynamic_stack: false
    .vgpr_count:     60
    .vgpr_spill_count: 0
    .wavefront_size: 64
amdhsa.target:   amdgcn-amd-amdhsa--gfx950
amdhsa.version:
  - 1
  - 2
...

	.end_amdgpu_metadata
